;; amdgpu-corpus repo=ROCm/rocFFT kind=compiled arch=gfx906 opt=O3
	.text
	.amdgcn_target "amdgcn-amd-amdhsa--gfx906"
	.amdhsa_code_object_version 6
	.protected	fft_rtc_fwd_len1936_factors_2_2_4_11_11_wgs_176_tpt_176_half_op_CI_CI_unitstride_sbrr_R2C_dirReg ; -- Begin function fft_rtc_fwd_len1936_factors_2_2_4_11_11_wgs_176_tpt_176_half_op_CI_CI_unitstride_sbrr_R2C_dirReg
	.globl	fft_rtc_fwd_len1936_factors_2_2_4_11_11_wgs_176_tpt_176_half_op_CI_CI_unitstride_sbrr_R2C_dirReg
	.p2align	8
	.type	fft_rtc_fwd_len1936_factors_2_2_4_11_11_wgs_176_tpt_176_half_op_CI_CI_unitstride_sbrr_R2C_dirReg,@function
fft_rtc_fwd_len1936_factors_2_2_4_11_11_wgs_176_tpt_176_half_op_CI_CI_unitstride_sbrr_R2C_dirReg: ; @fft_rtc_fwd_len1936_factors_2_2_4_11_11_wgs_176_tpt_176_half_op_CI_CI_unitstride_sbrr_R2C_dirReg
; %bb.0:
	s_load_dwordx4 s[8:11], s[4:5], 0x58
	s_load_dwordx4 s[12:15], s[4:5], 0x0
	;; [unrolled: 1-line block ×3, first 2 shown]
	v_mul_u32_u24_e32 v1, 0x175, v0
	v_add_u32_sdwa v9, s6, v1 dst_sel:DWORD dst_unused:UNUSED_PAD src0_sel:DWORD src1_sel:WORD_1
	v_mov_b32_e32 v7, 0
	s_waitcnt lgkmcnt(0)
	v_cmp_lt_u64_e64 s[0:1], s[14:15], 2
	v_mov_b32_e32 v1, 0
	v_mov_b32_e32 v10, v7
	s_and_b64 vcc, exec, s[0:1]
	v_mov_b32_e32 v2, 0
	s_cbranch_vccnz .LBB0_8
; %bb.1:
	s_load_dwordx2 s[0:1], s[4:5], 0x10
	s_add_u32 s2, s18, 8
	s_addc_u32 s3, s19, 0
	s_add_u32 s6, s16, 8
	v_mov_b32_e32 v1, 0
	s_addc_u32 s7, s17, 0
	v_mov_b32_e32 v2, 0
	s_waitcnt lgkmcnt(0)
	s_add_u32 s20, s0, 8
	v_mov_b32_e32 v4, v2
	s_addc_u32 s21, s1, 0
	s_mov_b64 s[22:23], 1
	v_mov_b32_e32 v3, v1
.LBB0_2:                                ; =>This Inner Loop Header: Depth=1
	s_load_dwordx2 s[24:25], s[20:21], 0x0
                                        ; implicit-def: $vgpr5_vgpr6
	s_waitcnt lgkmcnt(0)
	v_or_b32_e32 v8, s25, v10
	v_cmp_ne_u64_e32 vcc, 0, v[7:8]
	s_and_saveexec_b64 s[0:1], vcc
	s_xor_b64 s[26:27], exec, s[0:1]
	s_cbranch_execz .LBB0_4
; %bb.3:                                ;   in Loop: Header=BB0_2 Depth=1
	v_cvt_f32_u32_e32 v5, s24
	v_cvt_f32_u32_e32 v6, s25
	s_sub_u32 s0, 0, s24
	s_subb_u32 s1, 0, s25
	v_mac_f32_e32 v5, 0x4f800000, v6
	v_rcp_f32_e32 v5, v5
	v_mul_f32_e32 v5, 0x5f7ffffc, v5
	v_mul_f32_e32 v6, 0x2f800000, v5
	v_trunc_f32_e32 v6, v6
	v_mac_f32_e32 v5, 0xcf800000, v6
	v_cvt_u32_f32_e32 v6, v6
	v_cvt_u32_f32_e32 v5, v5
	v_mul_lo_u32 v8, s0, v6
	v_mul_hi_u32 v11, s0, v5
	v_mul_lo_u32 v13, s1, v5
	v_mul_lo_u32 v12, s0, v5
	v_add_u32_e32 v8, v11, v8
	v_add_u32_e32 v8, v8, v13
	v_mul_hi_u32 v11, v5, v12
	v_mul_lo_u32 v13, v5, v8
	v_mul_hi_u32 v15, v5, v8
	v_mul_hi_u32 v14, v6, v12
	v_mul_lo_u32 v12, v6, v12
	v_mul_hi_u32 v16, v6, v8
	v_add_co_u32_e32 v11, vcc, v11, v13
	v_addc_co_u32_e32 v13, vcc, 0, v15, vcc
	v_mul_lo_u32 v8, v6, v8
	v_add_co_u32_e32 v11, vcc, v11, v12
	v_addc_co_u32_e32 v11, vcc, v13, v14, vcc
	v_addc_co_u32_e32 v12, vcc, 0, v16, vcc
	v_add_co_u32_e32 v8, vcc, v11, v8
	v_addc_co_u32_e32 v11, vcc, 0, v12, vcc
	v_add_co_u32_e32 v5, vcc, v5, v8
	v_addc_co_u32_e32 v6, vcc, v6, v11, vcc
	v_mul_lo_u32 v8, s0, v6
	v_mul_hi_u32 v11, s0, v5
	v_mul_lo_u32 v12, s1, v5
	v_mul_lo_u32 v13, s0, v5
	v_add_u32_e32 v8, v11, v8
	v_add_u32_e32 v8, v8, v12
	v_mul_lo_u32 v14, v5, v8
	v_mul_hi_u32 v15, v5, v13
	v_mul_hi_u32 v16, v5, v8
	v_mul_hi_u32 v12, v6, v13
	v_mul_lo_u32 v13, v6, v13
	v_mul_hi_u32 v11, v6, v8
	v_add_co_u32_e32 v14, vcc, v15, v14
	v_addc_co_u32_e32 v15, vcc, 0, v16, vcc
	v_mul_lo_u32 v8, v6, v8
	v_add_co_u32_e32 v13, vcc, v14, v13
	v_addc_co_u32_e32 v12, vcc, v15, v12, vcc
	v_addc_co_u32_e32 v11, vcc, 0, v11, vcc
	v_add_co_u32_e32 v8, vcc, v12, v8
	v_addc_co_u32_e32 v11, vcc, 0, v11, vcc
	v_add_co_u32_e32 v8, vcc, v5, v8
	v_addc_co_u32_e32 v11, vcc, v6, v11, vcc
	v_mad_u64_u32 v[5:6], s[0:1], v9, v11, 0
	v_mul_hi_u32 v12, v9, v8
	v_add_co_u32_e32 v13, vcc, v12, v5
	v_addc_co_u32_e32 v14, vcc, 0, v6, vcc
	v_mad_u64_u32 v[5:6], s[0:1], v10, v8, 0
	v_mad_u64_u32 v[11:12], s[0:1], v10, v11, 0
	v_add_co_u32_e32 v5, vcc, v13, v5
	v_addc_co_u32_e32 v5, vcc, v14, v6, vcc
	v_addc_co_u32_e32 v6, vcc, 0, v12, vcc
	v_add_co_u32_e32 v8, vcc, v5, v11
	v_addc_co_u32_e32 v11, vcc, 0, v6, vcc
	v_mul_lo_u32 v12, s25, v8
	v_mul_lo_u32 v13, s24, v11
	v_mad_u64_u32 v[5:6], s[0:1], s24, v8, 0
	v_add3_u32 v6, v6, v13, v12
	v_sub_u32_e32 v12, v10, v6
	v_mov_b32_e32 v13, s25
	v_sub_co_u32_e32 v5, vcc, v9, v5
	v_subb_co_u32_e64 v12, s[0:1], v12, v13, vcc
	v_subrev_co_u32_e64 v13, s[0:1], s24, v5
	v_subbrev_co_u32_e64 v12, s[0:1], 0, v12, s[0:1]
	v_cmp_le_u32_e64 s[0:1], s25, v12
	v_cndmask_b32_e64 v14, 0, -1, s[0:1]
	v_cmp_le_u32_e64 s[0:1], s24, v13
	v_cndmask_b32_e64 v13, 0, -1, s[0:1]
	v_cmp_eq_u32_e64 s[0:1], s25, v12
	v_cndmask_b32_e64 v12, v14, v13, s[0:1]
	v_add_co_u32_e64 v13, s[0:1], 2, v8
	v_addc_co_u32_e64 v14, s[0:1], 0, v11, s[0:1]
	v_add_co_u32_e64 v15, s[0:1], 1, v8
	v_addc_co_u32_e64 v16, s[0:1], 0, v11, s[0:1]
	v_subb_co_u32_e32 v6, vcc, v10, v6, vcc
	v_cmp_ne_u32_e64 s[0:1], 0, v12
	v_cmp_le_u32_e32 vcc, s25, v6
	v_cndmask_b32_e64 v12, v16, v14, s[0:1]
	v_cndmask_b32_e64 v14, 0, -1, vcc
	v_cmp_le_u32_e32 vcc, s24, v5
	v_cndmask_b32_e64 v5, 0, -1, vcc
	v_cmp_eq_u32_e32 vcc, s25, v6
	v_cndmask_b32_e32 v5, v14, v5, vcc
	v_cmp_ne_u32_e32 vcc, 0, v5
	v_cndmask_b32_e64 v5, v15, v13, s[0:1]
	v_cndmask_b32_e32 v6, v11, v12, vcc
	v_cndmask_b32_e32 v5, v8, v5, vcc
.LBB0_4:                                ;   in Loop: Header=BB0_2 Depth=1
	s_andn2_saveexec_b64 s[0:1], s[26:27]
	s_cbranch_execz .LBB0_6
; %bb.5:                                ;   in Loop: Header=BB0_2 Depth=1
	v_cvt_f32_u32_e32 v5, s24
	s_sub_i32 s26, 0, s24
	v_rcp_iflag_f32_e32 v5, v5
	v_mul_f32_e32 v5, 0x4f7ffffe, v5
	v_cvt_u32_f32_e32 v5, v5
	v_mul_lo_u32 v6, s26, v5
	v_mul_hi_u32 v6, v5, v6
	v_add_u32_e32 v5, v5, v6
	v_mul_hi_u32 v5, v9, v5
	v_mul_lo_u32 v6, v5, s24
	v_add_u32_e32 v8, 1, v5
	v_sub_u32_e32 v6, v9, v6
	v_subrev_u32_e32 v11, s24, v6
	v_cmp_le_u32_e32 vcc, s24, v6
	v_cndmask_b32_e32 v6, v6, v11, vcc
	v_cndmask_b32_e32 v5, v5, v8, vcc
	v_add_u32_e32 v8, 1, v5
	v_cmp_le_u32_e32 vcc, s24, v6
	v_cndmask_b32_e32 v5, v5, v8, vcc
	v_mov_b32_e32 v6, v7
.LBB0_6:                                ;   in Loop: Header=BB0_2 Depth=1
	s_or_b64 exec, exec, s[0:1]
	v_mul_lo_u32 v8, v6, s24
	v_mul_lo_u32 v13, v5, s25
	v_mad_u64_u32 v[11:12], s[0:1], v5, s24, 0
	s_load_dwordx2 s[0:1], s[6:7], 0x0
	s_load_dwordx2 s[24:25], s[2:3], 0x0
	v_add3_u32 v8, v12, v13, v8
	v_sub_co_u32_e32 v9, vcc, v9, v11
	v_subb_co_u32_e32 v8, vcc, v10, v8, vcc
	s_waitcnt lgkmcnt(0)
	v_mul_lo_u32 v10, s0, v8
	v_mul_lo_u32 v11, s1, v9
	v_mad_u64_u32 v[1:2], s[0:1], s0, v9, v[1:2]
	v_mul_lo_u32 v8, s24, v8
	v_mul_lo_u32 v12, s25, v9
	v_mad_u64_u32 v[3:4], s[0:1], s24, v9, v[3:4]
	s_add_u32 s22, s22, 1
	s_addc_u32 s23, s23, 0
	s_add_u32 s2, s2, 8
	v_add3_u32 v4, v12, v4, v8
	s_addc_u32 s3, s3, 0
	v_mov_b32_e32 v8, s14
	s_add_u32 s6, s6, 8
	v_mov_b32_e32 v9, s15
	s_addc_u32 s7, s7, 0
	v_cmp_ge_u64_e32 vcc, s[22:23], v[8:9]
	s_add_u32 s20, s20, 8
	v_add3_u32 v2, v11, v2, v10
	s_addc_u32 s21, s21, 0
	s_cbranch_vccnz .LBB0_9
; %bb.7:                                ;   in Loop: Header=BB0_2 Depth=1
	v_mov_b32_e32 v10, v6
	v_mov_b32_e32 v9, v5
	s_branch .LBB0_2
.LBB0_8:
	v_mov_b32_e32 v4, v2
	v_mov_b32_e32 v5, v9
	;; [unrolled: 1-line block ×4, first 2 shown]
.LBB0_9:
	s_load_dwordx2 s[4:5], s[4:5], 0x28
	s_lshl_b64 s[6:7], s[14:15], 3
	s_add_u32 s2, s18, s6
	s_addc_u32 s3, s19, s7
                                        ; implicit-def: $vgpr7
                                        ; implicit-def: $vgpr9
                                        ; implicit-def: $vgpr14
                                        ; implicit-def: $vgpr13
                                        ; implicit-def: $vgpr12
                                        ; implicit-def: $vgpr11
	s_waitcnt lgkmcnt(0)
	v_cmp_gt_u64_e64 s[0:1], s[4:5], v[5:6]
	v_cmp_le_u64_e32 vcc, s[4:5], v[5:6]
	s_and_saveexec_b64 s[4:5], vcc
	s_xor_b64 s[4:5], exec, s[4:5]
; %bb.10:
	s_mov_b32 s14, 0x1745d18
	v_mul_hi_u32 v1, v0, s14
	v_mul_u32_u24_e32 v1, 0xb0, v1
	v_sub_u32_e32 v7, v0, v1
	v_add_u32_e32 v9, 0xb0, v7
	v_add_u32_e32 v14, 0x160, v7
	;; [unrolled: 1-line block ×5, first 2 shown]
                                        ; implicit-def: $vgpr0
                                        ; implicit-def: $vgpr1_vgpr2
; %bb.11:
	s_andn2_saveexec_b64 s[4:5], s[4:5]
	s_cbranch_execz .LBB0_13
; %bb.12:
	s_add_u32 s6, s16, s6
	s_addc_u32 s7, s17, s7
	s_load_dwordx2 s[6:7], s[6:7], 0x0
	s_mov_b32 s14, 0x1745d18
	v_mul_hi_u32 v7, v0, s14
	s_waitcnt lgkmcnt(0)
	v_mul_lo_u32 v10, s7, v5
	v_mul_lo_u32 v11, s6, v6
	v_mad_u64_u32 v[8:9], s[6:7], s6, v5, 0
	v_mul_u32_u24_e32 v7, 0xb0, v7
	v_sub_u32_e32 v7, v0, v7
	v_add3_u32 v9, v9, v11, v10
	v_lshlrev_b64 v[8:9], 2, v[8:9]
	v_mov_b32_e32 v0, s9
	v_add_co_u32_e32 v8, vcc, s8, v8
	v_addc_co_u32_e32 v9, vcc, v0, v9, vcc
	v_lshlrev_b64 v[0:1], 2, v[1:2]
	v_lshlrev_b32_e32 v2, 2, v7
	v_add_co_u32_e32 v0, vcc, v8, v0
	v_addc_co_u32_e32 v1, vcc, v9, v1, vcc
	v_add_co_u32_e32 v0, vcc, v0, v2
	v_addc_co_u32_e32 v1, vcc, 0, v1, vcc
	;; [unrolled: 2-line block ×3, first 2 shown]
	global_load_dword v10, v[0:1], off offset:2112
	global_load_dword v15, v[0:1], off offset:2816
	;; [unrolled: 1-line block ×6, first 2 shown]
	global_load_dword v20, v[0:1], off
	global_load_dword v21, v[0:1], off offset:704
	global_load_dword v22, v[8:9], off offset:1536
	;; [unrolled: 1-line block ×4, first 2 shown]
	v_add_u32_e32 v0, 0, v2
	v_add_u32_e32 v9, 0xb0, v7
	;; [unrolled: 1-line block ×10, first 2 shown]
	s_waitcnt vmcnt(5)
	ds_write2_b32 v1, v19, v10 offset0:32 offset1:208
	ds_write2_b32 v2, v15, v16 offset0:64 offset1:240
	;; [unrolled: 1-line block ×3, first 2 shown]
	s_waitcnt vmcnt(3)
	ds_write2_b32 v0, v20, v21 offset1:176
	s_waitcnt vmcnt(1)
	ds_write2_b32 v25, v22, v23 offset1:176
	s_waitcnt vmcnt(0)
	ds_write_b32 v0, v24 offset:7040
.LBB0_13:
	s_or_b64 exec, exec, s[4:5]
	v_lshlrev_b32_e32 v8, 2, v7
	v_add_u32_e32 v22, 0, v8
	v_add_u32_e32 v0, 0xa00, v22
	s_load_dwordx2 s[4:5], s[2:3], 0x0
	s_waitcnt lgkmcnt(0)
	s_barrier
	ds_read2_b32 v[15:16], v0 offset0:64 offset1:240
	v_add_u32_e32 v0, 0x1a00, v22
	ds_read2_b32 v[17:18], v0 offset0:8 offset1:184
	v_add_u32_e32 v0, 0x500, v22
	;; [unrolled: 2-line block ×3, first 2 shown]
	v_add_u32_e32 v1, 0xe00, v22
	ds_read2_b32 v[24:25], v0 offset0:40 offset1:216
	ds_read2_b32 v[26:27], v22 offset1:176
	ds_read2_b32 v[28:29], v1 offset0:72 offset1:248
	v_add_u32_e32 v2, v22, v8
	s_waitcnt lgkmcnt(0)
	s_barrier
	v_pk_add_f16 v10, v26, v28 neg_lo:[0,1] neg_hi:[0,1]
	v_pk_fma_f16 v21, v26, 2.0, v10 op_sel_hi:[1,0,1] neg_lo:[0,0,1] neg_hi:[0,0,1]
	ds_write2_b32 v2, v21, v10 offset1:1
	v_pk_add_f16 v2, v27, v29 neg_lo:[0,1] neg_hi:[0,1]
	v_pk_fma_f16 v10, v27, 2.0, v2 op_sel_hi:[1,0,1] neg_lo:[0,0,1] neg_hi:[0,0,1]
	v_lshl_add_u32 v23, v9, 3, 0
	ds_write2_b32 v23, v10, v2 offset1:1
	v_pk_add_f16 v10, v19, v24 neg_lo:[0,1] neg_hi:[0,1]
	v_lshl_add_u32 v2, v14, 3, 0
	v_pk_fma_f16 v19, v19, 2.0, v10 op_sel_hi:[1,0,1] neg_lo:[0,0,1] neg_hi:[0,0,1]
	ds_write2_b32 v2, v19, v10 offset1:1
	v_pk_add_f16 v19, v20, v25 neg_lo:[0,1] neg_hi:[0,1]
	v_pk_add_f16 v17, v15, v17 neg_lo:[0,1] neg_hi:[0,1]
	v_pk_fma_f16 v20, v20, 2.0, v19 op_sel_hi:[1,0,1] neg_lo:[0,0,1] neg_hi:[0,0,1]
	v_lshl_add_u32 v10, v13, 3, 0
	v_lshl_add_u32 v25, v12, 3, 0
	v_pk_fma_f16 v15, v15, 2.0, v17 op_sel_hi:[1,0,1] neg_lo:[0,0,1] neg_hi:[0,0,1]
	v_pk_add_f16 v18, v16, v18 neg_lo:[0,1] neg_hi:[0,1]
	s_movk_i32 s2, 0x58
	ds_write2_b32 v10, v20, v19 offset1:1
	ds_write2_b32 v25, v15, v17 offset1:1
	v_pk_fma_f16 v17, v16, 2.0, v18 op_sel_hi:[1,0,1] neg_lo:[0,0,1] neg_hi:[0,0,1]
	v_cmp_gt_u32_e32 vcc, s2, v7
	s_and_saveexec_b64 s[2:3], vcc
	s_cbranch_execz .LBB0_15
; %bb.14:
	v_lshl_add_u32 v15, v11, 3, 0
	ds_write2_b32 v15, v17, v18 offset1:1
.LBB0_15:
	s_or_b64 exec, exec, s[2:3]
	v_lshlrev_b32_e32 v34, 2, v13
	v_lshlrev_b32_e32 v35, 2, v12
	;; [unrolled: 1-line block ×4, first 2 shown]
	v_sub_u32_e32 v15, v10, v34
	v_sub_u32_e32 v16, v25, v35
	;; [unrolled: 1-line block ×3, first 2 shown]
	s_waitcnt lgkmcnt(0)
	s_barrier
	v_sub_u32_e32 v21, v2, v26
	ds_read_b32 v19, v15
	ds_read_b32 v20, v16
	;; [unrolled: 1-line block ×3, first 2 shown]
	ds_read2_b32 v[15:16], v1 offset0:72 offset1:248
	ds_read2_b32 v[0:1], v0 offset0:40 offset1:216
	ds_read_b32 v36, v21
	ds_read_b32 v37, v28
	ds_read_b32 v28, v22 offset:6688
	v_lshlrev_b32_e32 v30, 1, v9
	v_lshlrev_b32_e32 v31, 1, v14
	;; [unrolled: 1-line block ×4, first 2 shown]
	v_lshrrev_b32_e32 v29, 16, v18
	v_lshl_add_u32 v21, v11, 2, 0
	s_and_saveexec_b64 s[2:3], vcc
	s_cbranch_execz .LBB0_17
; %bb.16:
	ds_read_b32 v18, v22 offset:7392
	ds_read_b32 v17, v21
	s_waitcnt lgkmcnt(1)
	v_lshrrev_b32_e32 v29, 16, v18
.LBB0_17:
	s_or_b64 exec, exec, s[2:3]
	v_and_b32_e32 v40, 1, v7
	v_lshlrev_b32_e32 v38, 2, v40
	global_load_dword v41, v38, s[12:13]
	s_movk_i32 s3, 0x3fc
	s_movk_i32 s6, 0x7fc
	v_and_or_b32 v30, v30, s3, v40
	v_and_or_b32 v33, v33, s6, v40
	;; [unrolled: 1-line block ×4, first 2 shown]
	v_lshl_add_u32 v44, v30, 2, 0
	v_lshl_add_u32 v47, v33, 2, 0
	s_mov_b32 s7, 0xffff
	v_lshl_add_u32 v45, v31, 2, 0
	v_lshl_add_u32 v46, v32, 2, 0
	v_lshlrev_b32_e32 v42, 1, v7
	s_waitcnt lgkmcnt(0)
	v_lshrrev_b32_e32 v43, 16, v17
	s_movk_i32 s2, 0x1fc
	v_and_or_b32 v42, v42, s2, v40
	v_sub_u32_e32 v39, 0, v27
	v_sub_u32_e32 v38, 0, v26
	v_lshl_add_u32 v42, v42, 2, 0
	s_waitcnt vmcnt(0)
	s_barrier
	v_pk_mul_f16 v30, v41, v28 op_sel:[0,1]
	v_pk_mul_f16 v33, v41, v15 op_sel:[0,1]
	v_mul_f16_sdwa v31, v29, v41 dst_sel:DWORD dst_unused:UNUSED_PAD src0_sel:DWORD src1_sel:WORD_1
	v_mul_f16_sdwa v32, v18, v41 dst_sel:DWORD dst_unused:UNUSED_PAD src0_sel:DWORD src1_sel:WORD_1
	v_pk_mul_f16 v48, v41, v16 op_sel:[0,1]
	v_pk_mul_f16 v49, v41, v0 op_sel:[0,1]
	;; [unrolled: 1-line block ×3, first 2 shown]
	v_pk_fma_f16 v51, v41, v28, v30 op_sel:[0,0,1] op_sel_hi:[1,1,0] neg_lo:[0,0,1] neg_hi:[0,0,1]
	v_pk_fma_f16 v28, v41, v28, v30 op_sel:[0,0,1] op_sel_hi:[1,0,0]
	v_pk_fma_f16 v30, v41, v15, v33 op_sel:[0,0,1] op_sel_hi:[1,1,0] neg_lo:[0,0,1] neg_hi:[0,0,1]
	v_pk_fma_f16 v15, v41, v15, v33 op_sel:[0,0,1] op_sel_hi:[1,0,0]
	v_fma_f16 v18, v18, v41, -v31
	v_fma_f16 v29, v29, v41, v32
	v_pk_fma_f16 v32, v41, v16, v48 op_sel:[0,0,1] op_sel_hi:[1,1,0] neg_lo:[0,0,1] neg_hi:[0,0,1]
	v_pk_fma_f16 v16, v41, v16, v48 op_sel:[0,0,1] op_sel_hi:[1,0,0]
	v_pk_fma_f16 v33, v41, v0, v49 op_sel:[0,0,1] op_sel_hi:[1,1,0] neg_lo:[0,0,1] neg_hi:[0,0,1]
	v_pk_fma_f16 v0, v41, v0, v49 op_sel:[0,0,1] op_sel_hi:[1,0,0]
	;; [unrolled: 2-line block ×3, first 2 shown]
	v_bfi_b32 v41, s7, v51, v28
	v_bfi_b32 v15, s7, v30, v15
	v_sub_f16_e32 v28, v17, v18
	v_sub_f16_e32 v31, v43, v29
	v_bfi_b32 v16, s7, v32, v16
	v_bfi_b32 v0, s7, v33, v0
	;; [unrolled: 1-line block ×3, first 2 shown]
	v_pk_add_f16 v30, v20, v41 neg_lo:[0,1] neg_hi:[0,1]
	v_pk_add_f16 v15, v24, v15 neg_lo:[0,1] neg_hi:[0,1]
	v_fma_f16 v32, v17, 2.0, -v28
	v_fma_f16 v33, v43, 2.0, -v31
	v_pk_add_f16 v16, v37, v16 neg_lo:[0,1] neg_hi:[0,1]
	v_pk_add_f16 v0, v36, v0 neg_lo:[0,1] neg_hi:[0,1]
	;; [unrolled: 1-line block ×3, first 2 shown]
	v_pk_fma_f16 v29, v20, 2.0, v30 op_sel_hi:[1,0,1] neg_lo:[0,0,1] neg_hi:[0,0,1]
	v_pk_fma_f16 v17, v24, 2.0, v15 op_sel_hi:[1,0,1] neg_lo:[0,0,1] neg_hi:[0,0,1]
	;; [unrolled: 1-line block ×5, first 2 shown]
	ds_write2_b32 v42, v17, v15 offset1:2
	ds_write2_b32 v44, v18, v16 offset1:2
	;; [unrolled: 1-line block ×5, first 2 shown]
	s_and_saveexec_b64 s[2:3], vcc
	s_cbranch_execz .LBB0_19
; %bb.18:
	v_lshlrev_b32_e32 v0, 1, v11
	v_and_or_b32 v0, v0, s6, v40
	s_mov_b32 s6, 0x5040100
	v_lshl_add_u32 v0, v0, 2, 0
	v_perm_b32 v1, v33, v32, s6
	v_perm_b32 v15, v31, v28, s6
	ds_write2_b32 v0, v1, v15 offset1:2
.LBB0_19:
	s_or_b64 exec, exec, s[2:3]
	v_add_u32_e32 v0, 0x700, v22
	s_waitcnt lgkmcnt(0)
	s_barrier
	ds_read2_b32 v[15:16], v0 offset0:36 offset1:212
	v_add_u32_e32 v0, 0xe00, v22
	ds_read2_b32 v[17:18], v0 offset0:72 offset1:248
	v_add_u32_e32 v0, 0x1600, v22
	;; [unrolled: 2-line block ×3, first 2 shown]
	ds_read_b32 v41, v22
	ds_read_b32 v40, v24
	s_movk_i32 s2, 0x84
	v_cmp_gt_u32_e64 s[2:3], s2, v7
	v_lshrrev_b32_e32 v36, 16, v29
	v_lshrrev_b32_e32 v37, 16, v30
	v_add_u32_e32 v23, v2, v38
	s_and_saveexec_b64 s[6:7], s[2:3]
	s_cbranch_execz .LBB0_21
; %bb.20:
	ds_read_b32 v29, v23
	ds_read_b32 v30, v22 offset:3344
	ds_read_b32 v32, v22 offset:5280
	;; [unrolled: 1-line block ×3, first 2 shown]
	s_waitcnt lgkmcnt(3)
	v_lshrrev_b32_e32 v36, 16, v29
	s_waitcnt lgkmcnt(2)
	v_lshrrev_b32_e32 v37, 16, v30
	;; [unrolled: 2-line block ×4, first 2 shown]
.LBB0_21:
	s_or_b64 exec, exec, s[6:7]
	v_and_b32_e32 v39, 3, v7
	v_mul_u32_u24_e32 v0, 3, v39
	v_lshlrev_b32_e32 v0, 2, v0
	global_load_dwordx3 v[0:2], v0, s[12:13] offset:8
	s_waitcnt lgkmcnt(4)
	v_lshrrev_b32_e32 v43, 16, v15
	s_waitcnt lgkmcnt(3)
	v_lshrrev_b32_e32 v44, 16, v17
	;; [unrolled: 2-line block ×3, first 2 shown]
	v_lshrrev_b32_e32 v46, 16, v16
	v_lshrrev_b32_e32 v47, 16, v18
	;; [unrolled: 1-line block ×3, first 2 shown]
	v_sub_u32_e32 v38, 0, v34
	v_sub_u32_e32 v34, 0, v35
	s_waitcnt lgkmcnt(1)
	v_lshrrev_b32_e32 v35, 16, v41
	s_waitcnt lgkmcnt(0)
	v_lshrrev_b32_e32 v42, 16, v40
	s_movk_i32 s6, 0x3f0
	s_movk_i32 s7, 0x7f0
	v_and_or_b32 v49, v8, s6, v39
	v_and_or_b32 v27, v27, s7, v39
	v_lshl_add_u32 v49, v49, 2, 0
	v_lshl_add_u32 v27, v27, 2, 0
	s_waitcnt vmcnt(0)
	s_barrier
	v_mul_f16_sdwa v50, v0, v43 dst_sel:DWORD dst_unused:UNUSED_PAD src0_sel:WORD_1 src1_sel:DWORD
	v_mul_f16_sdwa v51, v0, v15 dst_sel:DWORD dst_unused:UNUSED_PAD src0_sel:WORD_1 src1_sel:DWORD
	;; [unrolled: 1-line block ×12, first 2 shown]
	v_fma_f16 v15, v0, v15, -v50
	v_fma_f16 v43, v0, v43, v51
	v_fma_f16 v17, v1, v17, -v52
	v_fma_f16 v44, v1, v44, v53
	;; [unrolled: 2-line block ×6, first 2 shown]
	v_sub_f16_e32 v17, v41, v17
	v_sub_f16_e32 v44, v35, v44
	;; [unrolled: 1-line block ×8, first 2 shown]
	v_fma_f16 v41, v41, 2.0, -v17
	v_fma_f16 v35, v35, 2.0, -v44
	;; [unrolled: 1-line block ×4, first 2 shown]
	v_sub_f16_e32 v45, v17, v45
	v_add_f16_e32 v19, v44, v19
	v_fma_f16 v40, v40, 2.0, -v18
	v_fma_f16 v42, v42, 2.0, -v47
	v_fma_f16 v16, v16, 2.0, -v20
	v_fma_f16 v46, v46, 2.0, -v48
	v_sub_f16_e32 v15, v41, v15
	v_sub_f16_e32 v43, v35, v43
	;; [unrolled: 1-line block ×3, first 2 shown]
	v_add_f16_e32 v20, v47, v20
	v_fma_f16 v17, v17, 2.0, -v45
	v_fma_f16 v44, v44, 2.0, -v19
	v_sub_f16_e32 v16, v40, v16
	v_sub_f16_e32 v46, v42, v46
	v_fma_f16 v41, v41, 2.0, -v15
	v_fma_f16 v35, v35, 2.0, -v43
	;; [unrolled: 1-line block ×4, first 2 shown]
	v_pack_b32_f16 v19, v45, v19
	v_fma_f16 v40, v40, 2.0, -v16
	v_fma_f16 v42, v42, 2.0, -v46
	v_pack_b32_f16 v17, v17, v44
	v_pack_b32_f16 v15, v15, v43
	;; [unrolled: 1-line block ×6, first 2 shown]
	ds_write2_b32 v49, v15, v19 offset0:8 offset1:12
	v_pack_b32_f16 v15, v40, v42
	ds_write2_b32 v49, v35, v17 offset1:4
	ds_write2_b32 v27, v15, v18 offset1:4
	ds_write2_b32 v27, v16, v20 offset0:8 offset1:12
	s_and_saveexec_b64 s[6:7], s[2:3]
	s_cbranch_execz .LBB0_23
; %bb.22:
	v_mul_f16_sdwa v15, v33, v1 dst_sel:DWORD dst_unused:UNUSED_PAD src0_sel:DWORD src1_sel:WORD_1
	v_mul_f16_sdwa v20, v32, v1 dst_sel:DWORD dst_unused:UNUSED_PAD src0_sel:DWORD src1_sel:WORD_1
	v_fma_f16 v15, v32, v1, -v15
	v_mul_f16_sdwa v16, v30, v0 dst_sel:DWORD dst_unused:UNUSED_PAD src0_sel:DWORD src1_sel:WORD_1
	v_fma_f16 v1, v33, v1, v20
	v_mul_f16_sdwa v20, v37, v0 dst_sel:DWORD dst_unused:UNUSED_PAD src0_sel:DWORD src1_sel:WORD_1
	v_fma_f16 v16, v37, v0, v16
	v_mul_f16_sdwa v17, v28, v2 dst_sel:DWORD dst_unused:UNUSED_PAD src0_sel:DWORD src1_sel:WORD_1
	v_fma_f16 v0, v30, v0, -v20
	v_mul_f16_sdwa v20, v31, v2 dst_sel:DWORD dst_unused:UNUSED_PAD src0_sel:DWORD src1_sel:WORD_1
	v_fma_f16 v17, v31, v2, v17
	v_fma_f16 v2, v28, v2, -v20
	v_sub_f16_e32 v15, v29, v15
	v_sub_f16_e32 v17, v16, v17
	v_sub_f16_e32 v1, v36, v1
	v_sub_f16_e32 v2, v0, v2
	v_sub_f16_e32 v18, v15, v17
	v_add_f16_e32 v20, v1, v2
	v_fma_f16 v19, v15, 2.0, -v18
	v_fma_f16 v27, v1, 2.0, -v20
	;; [unrolled: 1-line block ×6, first 2 shown]
	v_sub_f16_e32 v0, v15, v0
	v_sub_f16_e32 v2, v1, v2
	s_movk_i32 s2, 0xff0
	v_fma_f16 v15, v15, 2.0, -v0
	v_fma_f16 v1, v1, 2.0, -v2
	v_and_or_b32 v16, v26, s2, v39
	v_lshl_add_u32 v16, v16, 2, 0
	v_pack_b32_f16 v1, v15, v1
	v_pack_b32_f16 v15, v19, v27
	ds_write2_b32 v16, v1, v15 offset1:4
	v_pack_b32_f16 v0, v0, v2
	v_pack_b32_f16 v1, v18, v20
	ds_write2_b32 v16, v0, v1 offset0:8 offset1:12
.LBB0_23:
	s_or_b64 exec, exec, s[6:7]
	v_and_b32_e32 v15, 15, v7
	v_mul_u32_u24_e32 v16, 10, v15
	v_add_u32_e32 v1, v10, v38
	v_add_u32_e32 v0, v25, v34
	v_lshlrev_b32_e32 v40, 2, v16
	s_waitcnt lgkmcnt(0)
	s_barrier
	ds_read_b32 v20, v22
	ds_read_b32 v29, v24
	;; [unrolled: 1-line block ×6, first 2 shown]
	global_load_dwordx4 v[16:19], v40, s[12:13] offset:56
	s_waitcnt lgkmcnt(4)
	v_lshrrev_b32_e32 v41, 16, v29
	v_add_u32_e32 v2, 0x1000, v22
	ds_read2_b32 v[25:26], v2 offset0:32 offset1:208
	v_add_u32_e32 v10, 0x1600, v22
	s_waitcnt lgkmcnt(1)
	v_lshrrev_b32_e32 v45, 16, v33
	ds_read2_b32 v[27:28], v10 offset1:176
	ds_read_b32 v38, v22 offset:7040
	s_waitcnt lgkmcnt(2)
	v_lshrrev_b32_e32 v34, 16, v25
	v_lshrrev_b32_e32 v35, 16, v26
	s_movk_i32 s6, 0x3abb
	s_waitcnt lgkmcnt(1)
	v_lshrrev_b32_e32 v36, 16, v27
	v_lshrrev_b32_e32 v37, 16, v28
	s_waitcnt lgkmcnt(0)
	v_lshrrev_b32_e32 v39, 16, v38
	s_movk_i32 s2, 0x36a6
	s_mov_b32 s3, 0xb08e
	s_mov_b32 s7, 0xb93d
	;; [unrolled: 1-line block ×3, first 2 shown]
	s_waitcnt vmcnt(0)
	v_mul_f16_sdwa v42, v16, v41 dst_sel:DWORD dst_unused:UNUSED_PAD src0_sel:WORD_1 src1_sel:DWORD
	v_fma_f16 v42, v16, v29, -v42
	v_mul_f16_sdwa v29, v16, v29 dst_sel:DWORD dst_unused:UNUSED_PAD src0_sel:WORD_1 src1_sel:DWORD
	v_fma_f16 v29, v16, v41, v29
	v_lshrrev_b32_e32 v16, 16, v30
	v_mul_f16_sdwa v41, v17, v16 dst_sel:DWORD dst_unused:UNUSED_PAD src0_sel:WORD_1 src1_sel:DWORD
	v_fma_f16 v41, v17, v30, -v41
	v_mul_f16_sdwa v30, v17, v30 dst_sel:DWORD dst_unused:UNUSED_PAD src0_sel:WORD_1 src1_sel:DWORD
	v_fma_f16 v30, v17, v16, v30
	v_lshrrev_b32_e32 v16, 16, v31
	;; [unrolled: 5-line block ×3, first 2 shown]
	v_mul_f16_sdwa v17, v19, v16 dst_sel:DWORD dst_unused:UNUSED_PAD src0_sel:WORD_1 src1_sel:DWORD
	v_fma_f16 v44, v19, v32, -v17
	v_mul_f16_sdwa v17, v19, v32 dst_sel:DWORD dst_unused:UNUSED_PAD src0_sel:WORD_1 src1_sel:DWORD
	v_fma_f16 v32, v19, v16, v17
	global_load_dwordx4 v[16:19], v40, s[12:13] offset:72
	s_waitcnt vmcnt(0)
	v_mul_f16_sdwa v46, v16, v45 dst_sel:DWORD dst_unused:UNUSED_PAD src0_sel:WORD_1 src1_sel:DWORD
	v_fma_f16 v46, v16, v33, -v46
	v_mul_f16_sdwa v33, v16, v33 dst_sel:DWORD dst_unused:UNUSED_PAD src0_sel:WORD_1 src1_sel:DWORD
	v_fma_f16 v33, v16, v45, v33
	v_mul_f16_sdwa v16, v34, v17 dst_sel:DWORD dst_unused:UNUSED_PAD src0_sel:DWORD src1_sel:WORD_1
	v_fma_f16 v45, v25, v17, -v16
	v_mul_f16_sdwa v16, v25, v17 dst_sel:DWORD dst_unused:UNUSED_PAD src0_sel:DWORD src1_sel:WORD_1
	v_fma_f16 v25, v34, v17, v16
	v_mul_f16_sdwa v16, v35, v18 dst_sel:DWORD dst_unused:UNUSED_PAD src0_sel:DWORD src1_sel:WORD_1
	v_fma_f16 v34, v26, v18, -v16
	v_mul_f16_sdwa v16, v26, v18 dst_sel:DWORD dst_unused:UNUSED_PAD src0_sel:DWORD src1_sel:WORD_1
	;; [unrolled: 4-line block ×3, first 2 shown]
	v_fma_f16 v19, v36, v19, v16
	global_load_dwordx2 v[16:17], v40, s[12:13] offset:88
	v_add_f16_sdwa v36, v29, v20 dst_sel:DWORD dst_unused:UNUSED_PAD src0_sel:DWORD src1_sel:WORD_1
	v_add_f16_e32 v36, v36, v30
	v_add_f16_e32 v36, v36, v31
	;; [unrolled: 1-line block ×7, first 2 shown]
	s_waitcnt vmcnt(0)
	s_barrier
	v_mul_f16_sdwa v27, v37, v16 dst_sel:DWORD dst_unused:UNUSED_PAD src0_sel:DWORD src1_sel:WORD_1
	v_fma_f16 v27, v28, v16, -v27
	v_mul_f16_sdwa v28, v28, v16 dst_sel:DWORD dst_unused:UNUSED_PAD src0_sel:DWORD src1_sel:WORD_1
	v_fma_f16 v16, v37, v16, v28
	v_mul_f16_sdwa v28, v39, v17 dst_sel:DWORD dst_unused:UNUSED_PAD src0_sel:DWORD src1_sel:WORD_1
	v_mul_f16_sdwa v35, v38, v17 dst_sel:DWORD dst_unused:UNUSED_PAD src0_sel:DWORD src1_sel:WORD_1
	v_fma_f16 v28, v38, v17, -v28
	v_fma_f16 v17, v39, v17, v35
	v_add_f16_e32 v35, v42, v20
	v_add_f16_e32 v35, v35, v41
	;; [unrolled: 1-line block ×14, first 2 shown]
	v_sub_f16_e32 v28, v42, v28
	v_sub_f16_e32 v17, v29, v17
	v_mul_f16_e32 v29, 0xb853, v17
	v_mul_f16_e32 v40, 0xb853, v28
	;; [unrolled: 1-line block ×10, first 2 shown]
	v_fma_f16 v39, v37, s6, -v29
	v_fma_f16 v42, v38, s6, v40
	v_fma_f16 v29, v37, s6, v29
	v_fma_f16 v40, v38, s6, -v40
	v_fma_f16 v48, v37, s2, -v47
	v_fma_f16 v50, v38, s2, v49
	v_fma_f16 v47, v37, s2, v47
	v_fma_f16 v49, v38, s2, -v49
	;; [unrolled: 4-line block ×5, first 2 shown]
	v_add_f16_e32 v37, v30, v16
	v_sub_f16_e32 v16, v30, v16
	v_add_f16_e32 v39, v39, v20
	v_add_f16_sdwa v42, v42, v20 dst_sel:DWORD dst_unused:UNUSED_PAD src0_sel:DWORD src1_sel:WORD_1
	v_add_f16_e32 v29, v29, v20
	v_add_f16_sdwa v40, v40, v20 dst_sel:DWORD dst_unused:UNUSED_PAD src0_sel:DWORD src1_sel:WORD_1
	;; [unrolled: 2-line block ×10, first 2 shown]
	v_add_f16_e32 v28, v41, v27
	v_mul_f16_e32 v30, 0xbb47, v16
	v_sub_f16_e32 v27, v41, v27
	v_fma_f16 v38, v28, s2, -v30
	v_add_f16_e32 v38, v38, v39
	v_mul_f16_e32 v39, 0xbb47, v27
	v_fma_f16 v30, v28, s2, v30
	v_fma_f16 v41, v37, s2, v39
	v_add_f16_e32 v29, v30, v29
	v_fma_f16 v30, v37, s2, -v39
	v_mul_f16_e32 v39, 0xba0c, v16
	v_add_f16_e32 v41, v41, v42
	v_add_f16_e32 v30, v30, v40
	v_fma_f16 v40, v28, s7, -v39
	v_mul_f16_e32 v42, 0xba0c, v27
	v_fma_f16 v39, v28, s7, v39
	v_add_f16_e32 v40, v40, v48
	v_fma_f16 v48, v37, s7, v42
	v_add_f16_e32 v39, v39, v47
	v_fma_f16 v42, v37, s7, -v42
	v_mul_f16_e32 v47, 0x3482, v16
	v_add_f16_e32 v48, v48, v50
	v_add_f16_e32 v42, v42, v49
	v_fma_f16 v49, v28, s8, -v47
	v_mul_f16_e32 v50, 0x3482, v27
	v_fma_f16 v47, v28, s8, v47
	v_add_f16_e32 v49, v49, v52
	v_fma_f16 v52, v37, s8, v50
	v_add_f16_e32 v47, v47, v51
	v_fma_f16 v50, v37, s8, -v50
	v_mul_f16_e32 v51, 0x3beb, v16
	v_add_f16_e32 v52, v52, v54
	v_add_f16_e32 v50, v50, v53
	v_fma_f16 v53, v28, s3, -v51
	v_mul_f16_e32 v54, 0x3beb, v27
	v_fma_f16 v51, v28, s3, v51
	v_mul_f16_e32 v16, 0x3853, v16
	v_add_f16_e32 v53, v53, v56
	v_fma_f16 v56, v37, s3, v54
	v_add_f16_e32 v51, v51, v55
	v_fma_f16 v54, v37, s3, -v54
	v_fma_f16 v55, v28, s6, -v16
	v_mul_f16_e32 v27, 0x3853, v27
	v_fma_f16 v16, v28, s6, v16
	v_add_f16_e32 v54, v54, v57
	v_fma_f16 v57, v37, s6, v27
	v_add_f16_e32 v16, v16, v17
	v_fma_f16 v17, v37, s6, -v27
	v_add_f16_e32 v27, v31, v19
	v_sub_f16_e32 v19, v31, v19
	v_add_f16_e32 v17, v17, v20
	v_add_f16_e32 v20, v43, v26
	v_sub_f16_e32 v26, v43, v26
	v_mul_f16_e32 v28, 0xbbeb, v19
	v_fma_f16 v31, v20, s3, -v28
	v_mul_f16_e32 v37, 0xbbeb, v26
	v_fma_f16 v28, v20, s3, v28
	v_add_f16_e32 v28, v28, v29
	v_fma_f16 v29, v27, s3, -v37
	v_add_f16_e32 v29, v29, v30
	v_mul_f16_e32 v30, 0x3482, v19
	v_add_f16_e32 v31, v31, v38
	v_fma_f16 v38, v27, s3, v37
	v_fma_f16 v37, v20, s8, -v30
	v_add_f16_e32 v37, v37, v40
	v_mul_f16_e32 v40, 0x3482, v26
	v_fma_f16 v30, v20, s8, v30
	v_add_f16_e32 v38, v38, v41
	v_fma_f16 v41, v27, s8, v40
	v_add_f16_e32 v30, v30, v39
	v_fma_f16 v39, v27, s8, -v40
	v_mul_f16_e32 v40, 0x3b47, v19
	v_add_f16_e32 v39, v39, v42
	v_fma_f16 v42, v20, s2, -v40
	v_fma_f16 v40, v20, s2, v40
	v_mul_f16_e32 v43, 0x3b47, v26
	v_add_f16_e32 v40, v40, v47
	v_mul_f16_e32 v47, 0xb853, v19
	v_add_f16_e32 v41, v41, v48
	v_add_f16_e32 v42, v42, v49
	v_fma_f16 v48, v27, s2, v43
	v_fma_f16 v43, v27, s2, -v43
	v_fma_f16 v49, v20, s6, -v47
	v_fma_f16 v47, v20, s6, v47
	v_mul_f16_e32 v19, 0xba0c, v19
	v_add_f16_e32 v43, v43, v50
	v_mul_f16_e32 v50, 0xb853, v26
	v_add_f16_e32 v47, v47, v51
	v_fma_f16 v51, v20, s7, -v19
	v_mul_f16_e32 v26, 0xba0c, v26
	v_fma_f16 v19, v20, s7, v19
	v_add_f16_e32 v16, v19, v16
	v_fma_f16 v19, v27, s7, -v26
	v_add_f16_e32 v20, v32, v18
	v_sub_f16_e32 v18, v32, v18
	v_add_f16_e32 v48, v48, v52
	v_add_f16_e32 v49, v49, v53
	v_fma_f16 v52, v27, s6, v50
	v_fma_f16 v50, v27, s6, -v50
	v_fma_f16 v53, v27, s7, v26
	v_add_f16_e32 v17, v19, v17
	v_add_f16_e32 v19, v44, v34
	v_mul_f16_e32 v27, 0xba0c, v18
	v_sub_f16_e32 v26, v44, v34
	v_fma_f16 v32, v19, s7, -v27
	v_add_f16_e32 v31, v32, v31
	v_mul_f16_e32 v32, 0xba0c, v26
	v_fma_f16 v27, v19, s7, v27
	v_add_f16_e32 v27, v27, v28
	v_fma_f16 v28, v20, s7, -v32
	v_add_f16_e32 v28, v28, v29
	v_mul_f16_e32 v29, 0x3beb, v18
	v_fma_f16 v34, v20, s7, v32
	v_fma_f16 v32, v19, s3, -v29
	v_add_f16_e32 v32, v32, v37
	v_mul_f16_e32 v37, 0x3beb, v26
	v_fma_f16 v29, v19, s3, v29
	v_add_f16_e32 v34, v34, v38
	v_fma_f16 v38, v20, s3, v37
	v_add_f16_e32 v29, v29, v30
	v_fma_f16 v30, v20, s3, -v37
	v_mul_f16_e32 v37, 0xb853, v18
	v_add_f16_e32 v38, v38, v41
	v_add_f16_e32 v30, v30, v39
	v_fma_f16 v39, v19, s6, -v37
	v_mul_f16_e32 v41, 0xb853, v26
	v_fma_f16 v37, v19, s6, v37
	v_add_f16_e32 v39, v39, v42
	v_fma_f16 v42, v20, s6, v41
	v_add_f16_e32 v37, v37, v40
	v_fma_f16 v40, v20, s6, -v41
	v_mul_f16_e32 v41, 0xb482, v18
	v_add_f16_e32 v40, v40, v43
	v_fma_f16 v43, v19, s8, -v41
	v_fma_f16 v41, v19, s8, v41
	v_mul_f16_e32 v18, 0x3b47, v18
	v_mul_f16_e32 v44, 0xb482, v26
	v_add_f16_e32 v41, v41, v47
	v_fma_f16 v47, v19, s2, -v18
	v_mul_f16_e32 v26, 0x3b47, v26
	v_fma_f16 v18, v19, s2, v18
	v_add_f16_e32 v16, v18, v16
	v_fma_f16 v18, v20, s2, -v26
	v_add_f16_e32 v19, v33, v25
	v_sub_f16_e32 v25, v33, v25
	v_add_f16_e32 v43, v43, v49
	v_fma_f16 v49, v20, s2, v26
	v_add_f16_e32 v17, v18, v17
	v_add_f16_e32 v18, v46, v45
	v_mul_f16_e32 v26, 0xb482, v25
	v_add_f16_e32 v42, v42, v48
	v_fma_f16 v48, v20, s8, v44
	v_fma_f16 v44, v20, s8, -v44
	v_sub_f16_e32 v20, v46, v45
	v_fma_f16 v33, v18, s8, -v26
	v_add_f16_e32 v31, v33, v31
	v_mul_f16_e32 v33, 0xb482, v20
	v_fma_f16 v26, v18, s8, v26
	v_add_f16_e32 v26, v26, v27
	v_fma_f16 v27, v19, s8, -v33
	v_add_f16_e32 v27, v27, v28
	v_mul_f16_e32 v28, 0x3853, v25
	v_fma_f16 v45, v19, s8, v33
	v_fma_f16 v33, v18, s6, -v28
	v_add_f16_e32 v32, v33, v32
	v_mul_f16_e32 v33, 0x3853, v20
	v_fma_f16 v28, v18, s6, v28
	v_add_f16_e32 v28, v28, v29
	v_fma_f16 v29, v19, s6, -v33
	v_add_f16_e32 v29, v29, v30
	v_mul_f16_e32 v30, 0xba0c, v25
	v_add_f16_e32 v34, v45, v34
	v_fma_f16 v45, v19, s6, v33
	v_fma_f16 v33, v18, s7, -v30
	v_add_f16_e32 v33, v33, v39
	v_mul_f16_e32 v39, 0xba0c, v20
	v_fma_f16 v30, v18, s7, v30
	v_add_f16_e32 v38, v45, v38
	v_fma_f16 v45, v19, s7, v39
	v_add_f16_e32 v30, v30, v37
	v_fma_f16 v37, v19, s7, -v39
	v_mul_f16_e32 v39, 0x3b47, v25
	v_add_f16_e32 v37, v37, v40
	v_fma_f16 v40, v18, s2, -v39
	v_add_f16_e32 v40, v40, v43
	v_mul_f16_e32 v43, 0x3b47, v20
	v_fma_f16 v39, v18, s2, v39
	v_mul_f16_e32 v25, 0xbbeb, v25
	v_add_f16_e32 v42, v45, v42
	v_fma_f16 v45, v19, s2, v43
	v_add_f16_e32 v39, v39, v41
	v_fma_f16 v41, v19, s2, -v43
	v_fma_f16 v43, v18, s3, -v25
	v_mul_f16_e32 v20, 0xbbeb, v20
	v_fma_f16 v18, v18, s3, v25
	v_add_f16_e32 v16, v18, v16
	v_fma_f16 v18, v19, s3, -v20
	v_add_f16_e32 v50, v50, v54
	v_add_f16_e32 v17, v18, v17
	v_lshrrev_b32_e32 v18, 4, v7
	v_add_f16_e32 v56, v56, v58
	v_add_f16_e32 v55, v55, v59
	;; [unrolled: 1-line block ×4, first 2 shown]
	v_mul_u32_u24_e32 v18, 0xb0, v18
	v_add_f16_e32 v52, v52, v56
	v_add_f16_e32 v51, v51, v55
	;; [unrolled: 1-line block ×4, first 2 shown]
	v_or_b32_e32 v15, v18, v15
	v_add_f16_e32 v48, v48, v52
	v_add_f16_e32 v47, v47, v51
	;; [unrolled: 1-line block ×3, first 2 shown]
	v_fma_f16 v44, v19, s3, v20
	v_lshl_add_u32 v15, v15, 2, 0
	v_pack_b32_f16 v18, v35, v36
	v_pack_b32_f16 v19, v31, v34
	;; [unrolled: 1-line block ×4, first 2 shown]
	v_add_f16_e32 v45, v45, v48
	v_add_f16_e32 v43, v43, v47
	;; [unrolled: 1-line block ×3, first 2 shown]
	ds_write2_b32 v15, v18, v19 offset1:16
	v_pack_b32_f16 v18, v32, v38
	v_pack_b32_f16 v19, v33, v42
	ds_write2_b32 v15, v16, v17 offset0:96 offset1:112
	v_pack_b32_f16 v16, v30, v37
	v_pack_b32_f16 v17, v28, v29
	ds_write2_b32 v15, v18, v19 offset0:32 offset1:48
	;; [unrolled: 3-line block ×3, first 2 shown]
	v_pack_b32_f16 v16, v26, v27
	ds_write2_b32 v15, v18, v19 offset0:64 offset1:80
	ds_write_b32 v15, v16 offset:640
	v_mul_u32_u24_e32 v15, 10, v7
	v_lshlrev_b32_e32 v39, 2, v15
	s_waitcnt lgkmcnt(0)
	s_barrier
	ds_read_b32 v27, v22
	ds_read_b32 v28, v24
	;; [unrolled: 1-line block ×6, first 2 shown]
	ds_read2_b32 v[19:20], v2 offset0:32 offset1:208
	global_load_dwordx4 v[15:18], v39, s[12:13] offset:696
	s_waitcnt lgkmcnt(5)
	v_lshrrev_b32_e32 v40, 16, v28
	ds_read2_b32 v[25:26], v10 offset1:176
	s_waitcnt lgkmcnt(2)
	v_lshrrev_b32_e32 v44, 16, v32
	s_waitcnt lgkmcnt(1)
	v_lshrrev_b32_e32 v33, 16, v19
	v_lshrrev_b32_e32 v34, 16, v20
	ds_read_b32 v37, v22 offset:7040
	s_waitcnt lgkmcnt(1)
	v_lshrrev_b32_e32 v35, 16, v25
	v_lshrrev_b32_e32 v36, 16, v26
	s_waitcnt lgkmcnt(0)
	v_lshrrev_b32_e32 v38, 16, v37
	s_waitcnt vmcnt(0)
	v_mul_f16_sdwa v41, v15, v40 dst_sel:DWORD dst_unused:UNUSED_PAD src0_sel:WORD_1 src1_sel:DWORD
	v_fma_f16 v41, v15, v28, -v41
	v_mul_f16_sdwa v28, v15, v28 dst_sel:DWORD dst_unused:UNUSED_PAD src0_sel:WORD_1 src1_sel:DWORD
	v_fma_f16 v28, v15, v40, v28
	v_lshrrev_b32_e32 v15, 16, v29
	v_mul_f16_sdwa v40, v16, v15 dst_sel:DWORD dst_unused:UNUSED_PAD src0_sel:WORD_1 src1_sel:DWORD
	v_fma_f16 v40, v16, v29, -v40
	v_mul_f16_sdwa v29, v16, v29 dst_sel:DWORD dst_unused:UNUSED_PAD src0_sel:WORD_1 src1_sel:DWORD
	v_fma_f16 v29, v16, v15, v29
	v_lshrrev_b32_e32 v15, 16, v30
	;; [unrolled: 5-line block ×3, first 2 shown]
	v_mul_f16_sdwa v16, v18, v15 dst_sel:DWORD dst_unused:UNUSED_PAD src0_sel:WORD_1 src1_sel:DWORD
	v_fma_f16 v43, v18, v31, -v16
	v_mul_f16_sdwa v16, v18, v31 dst_sel:DWORD dst_unused:UNUSED_PAD src0_sel:WORD_1 src1_sel:DWORD
	v_fma_f16 v31, v18, v15, v16
	global_load_dwordx4 v[15:18], v39, s[12:13] offset:712
	s_waitcnt vmcnt(0)
	v_mul_f16_sdwa v45, v15, v44 dst_sel:DWORD dst_unused:UNUSED_PAD src0_sel:WORD_1 src1_sel:DWORD
	v_fma_f16 v45, v15, v32, -v45
	v_mul_f16_sdwa v32, v15, v32 dst_sel:DWORD dst_unused:UNUSED_PAD src0_sel:WORD_1 src1_sel:DWORD
	v_fma_f16 v32, v15, v44, v32
	v_mul_f16_sdwa v15, v33, v16 dst_sel:DWORD dst_unused:UNUSED_PAD src0_sel:DWORD src1_sel:WORD_1
	v_fma_f16 v44, v19, v16, -v15
	v_mul_f16_sdwa v15, v19, v16 dst_sel:DWORD dst_unused:UNUSED_PAD src0_sel:DWORD src1_sel:WORD_1
	v_fma_f16 v19, v33, v16, v15
	v_mul_f16_sdwa v15, v34, v17 dst_sel:DWORD dst_unused:UNUSED_PAD src0_sel:DWORD src1_sel:WORD_1
	v_fma_f16 v33, v20, v17, -v15
	v_mul_f16_sdwa v15, v20, v17 dst_sel:DWORD dst_unused:UNUSED_PAD src0_sel:DWORD src1_sel:WORD_1
	;; [unrolled: 4-line block ×3, first 2 shown]
	v_fma_f16 v18, v35, v18, v15
	global_load_dwordx2 v[15:16], v39, s[12:13] offset:728
	v_add_f16_sdwa v35, v28, v27 dst_sel:DWORD dst_unused:UNUSED_PAD src0_sel:DWORD src1_sel:WORD_1
	v_add_f16_e32 v35, v35, v29
	v_add_f16_e32 v35, v35, v30
	;; [unrolled: 1-line block ×7, first 2 shown]
	s_waitcnt vmcnt(0)
	s_barrier
	v_mul_f16_sdwa v25, v36, v15 dst_sel:DWORD dst_unused:UNUSED_PAD src0_sel:DWORD src1_sel:WORD_1
	v_fma_f16 v25, v26, v15, -v25
	v_mul_f16_sdwa v26, v26, v15 dst_sel:DWORD dst_unused:UNUSED_PAD src0_sel:DWORD src1_sel:WORD_1
	v_fma_f16 v15, v36, v15, v26
	v_mul_f16_sdwa v26, v38, v16 dst_sel:DWORD dst_unused:UNUSED_PAD src0_sel:DWORD src1_sel:WORD_1
	v_mul_f16_sdwa v34, v37, v16 dst_sel:DWORD dst_unused:UNUSED_PAD src0_sel:DWORD src1_sel:WORD_1
	v_fma_f16 v26, v37, v16, -v26
	v_fma_f16 v16, v38, v16, v34
	v_add_f16_e32 v34, v41, v27
	v_add_f16_e32 v34, v34, v40
	;; [unrolled: 1-line block ×14, first 2 shown]
	v_sub_f16_e32 v26, v41, v26
	v_sub_f16_e32 v16, v28, v16
	v_mul_f16_e32 v28, 0xb853, v16
	v_mul_f16_e32 v39, 0xb853, v26
	v_mul_f16_e32 v46, 0xbb47, v16
	v_mul_f16_e32 v48, 0xbb47, v26
	v_mul_f16_e32 v50, 0xbbeb, v16
	v_mul_f16_e32 v52, 0xbbeb, v26
	v_mul_f16_e32 v54, 0xba0c, v16
	v_mul_f16_e32 v56, 0xba0c, v26
	v_mul_f16_e32 v16, 0xb482, v16
	v_mul_f16_e32 v26, 0xb482, v26
	v_fma_f16 v38, v36, s6, -v28
	v_fma_f16 v41, v37, s6, v39
	v_fma_f16 v28, v36, s6, v28
	v_fma_f16 v39, v37, s6, -v39
	v_fma_f16 v47, v36, s2, -v46
	v_fma_f16 v49, v37, s2, v48
	v_fma_f16 v46, v36, s2, v46
	v_fma_f16 v48, v37, s2, -v48
	;; [unrolled: 4-line block ×5, first 2 shown]
	v_add_f16_e32 v36, v29, v15
	v_sub_f16_e32 v15, v29, v15
	v_add_f16_e32 v38, v38, v27
	v_add_f16_sdwa v41, v41, v27 dst_sel:DWORD dst_unused:UNUSED_PAD src0_sel:DWORD src1_sel:WORD_1
	v_add_f16_e32 v28, v28, v27
	v_add_f16_sdwa v39, v39, v27 dst_sel:DWORD dst_unused:UNUSED_PAD src0_sel:DWORD src1_sel:WORD_1
	;; [unrolled: 2-line block ×10, first 2 shown]
	v_add_f16_e32 v27, v40, v25
	v_mul_f16_e32 v29, 0xbb47, v15
	v_sub_f16_e32 v25, v40, v25
	v_fma_f16 v37, v27, s2, -v29
	v_add_f16_e32 v37, v37, v38
	v_mul_f16_e32 v38, 0xbb47, v25
	v_fma_f16 v29, v27, s2, v29
	v_fma_f16 v40, v36, s2, v38
	v_add_f16_e32 v28, v29, v28
	v_fma_f16 v29, v36, s2, -v38
	v_mul_f16_e32 v38, 0xba0c, v15
	v_add_f16_e32 v40, v40, v41
	v_add_f16_e32 v29, v29, v39
	v_fma_f16 v39, v27, s7, -v38
	v_mul_f16_e32 v41, 0xba0c, v25
	v_fma_f16 v38, v27, s7, v38
	v_add_f16_e32 v39, v39, v47
	v_fma_f16 v47, v36, s7, v41
	v_add_f16_e32 v38, v38, v46
	v_fma_f16 v41, v36, s7, -v41
	v_mul_f16_e32 v46, 0x3482, v15
	v_add_f16_e32 v47, v47, v49
	v_add_f16_e32 v41, v41, v48
	v_fma_f16 v48, v27, s8, -v46
	v_mul_f16_e32 v49, 0x3482, v25
	v_fma_f16 v46, v27, s8, v46
	v_add_f16_e32 v48, v48, v51
	v_fma_f16 v51, v36, s8, v49
	v_add_f16_e32 v46, v46, v50
	v_fma_f16 v49, v36, s8, -v49
	v_mul_f16_e32 v50, 0x3beb, v15
	v_add_f16_e32 v49, v49, v52
	v_fma_f16 v52, v27, s3, -v50
	v_fma_f16 v50, v27, s3, v50
	v_mul_f16_e32 v15, 0x3853, v15
	v_add_f16_e32 v51, v51, v53
	v_mul_f16_e32 v53, 0x3beb, v25
	v_add_f16_e32 v50, v50, v54
	v_fma_f16 v54, v27, s6, -v15
	v_mul_f16_e32 v25, 0x3853, v25
	v_fma_f16 v15, v27, s6, v15
	v_add_f16_e32 v15, v15, v16
	v_fma_f16 v16, v36, s6, -v25
	v_add_f16_e32 v52, v52, v55
	v_fma_f16 v55, v36, s3, v53
	v_fma_f16 v53, v36, s3, -v53
	v_add_f16_e32 v16, v16, v26
	v_add_f16_e32 v26, v30, v18
	v_sub_f16_e32 v18, v30, v18
	v_add_f16_e32 v53, v53, v56
	v_fma_f16 v56, v36, s6, v25
	v_add_f16_e32 v25, v42, v20
	v_sub_f16_e32 v20, v42, v20
	v_mul_f16_e32 v27, 0xbbeb, v18
	v_fma_f16 v30, v25, s3, -v27
	v_mul_f16_e32 v36, 0xbbeb, v20
	v_fma_f16 v27, v25, s3, v27
	v_add_f16_e32 v27, v27, v28
	v_fma_f16 v28, v26, s3, -v36
	v_add_f16_e32 v28, v28, v29
	v_mul_f16_e32 v29, 0x3482, v18
	v_add_f16_e32 v30, v30, v37
	v_fma_f16 v37, v26, s3, v36
	v_fma_f16 v36, v25, s8, -v29
	v_add_f16_e32 v36, v36, v39
	v_mul_f16_e32 v39, 0x3482, v20
	v_fma_f16 v29, v25, s8, v29
	v_add_f16_e32 v37, v37, v40
	v_fma_f16 v40, v26, s8, v39
	v_add_f16_e32 v29, v29, v38
	v_fma_f16 v38, v26, s8, -v39
	v_mul_f16_e32 v39, 0x3b47, v18
	v_add_f16_e32 v38, v38, v41
	v_fma_f16 v41, v25, s2, -v39
	v_fma_f16 v39, v25, s2, v39
	v_mul_f16_e32 v42, 0x3b47, v20
	v_add_f16_e32 v39, v39, v46
	v_mul_f16_e32 v46, 0xb853, v18
	v_add_f16_e32 v40, v40, v47
	v_add_f16_e32 v41, v41, v48
	v_fma_f16 v47, v26, s2, v42
	v_fma_f16 v42, v26, s2, -v42
	v_fma_f16 v48, v25, s6, -v46
	v_fma_f16 v46, v25, s6, v46
	v_mul_f16_e32 v18, 0xba0c, v18
	v_add_f16_e32 v42, v42, v49
	v_mul_f16_e32 v49, 0xb853, v20
	v_add_f16_e32 v46, v46, v50
	v_fma_f16 v50, v25, s7, -v18
	v_mul_f16_e32 v20, 0xba0c, v20
	v_fma_f16 v18, v25, s7, v18
	v_add_f16_e32 v48, v48, v52
	v_fma_f16 v52, v26, s7, v20
	v_add_f16_e32 v15, v18, v15
	v_fma_f16 v18, v26, s7, -v20
	v_add_f16_e32 v20, v31, v17
	v_sub_f16_e32 v17, v31, v17
	v_add_f16_e32 v47, v47, v51
	v_fma_f16 v51, v26, s6, v49
	v_fma_f16 v49, v26, s6, -v49
	v_add_f16_e32 v16, v18, v16
	v_add_f16_e32 v18, v43, v33
	v_mul_f16_e32 v26, 0xba0c, v17
	v_sub_f16_e32 v25, v43, v33
	v_fma_f16 v31, v18, s7, -v26
	v_add_f16_e32 v30, v31, v30
	v_mul_f16_e32 v31, 0xba0c, v25
	v_fma_f16 v26, v18, s7, v26
	v_add_f16_e32 v26, v26, v27
	v_fma_f16 v27, v20, s7, -v31
	v_add_f16_e32 v27, v27, v28
	v_mul_f16_e32 v28, 0x3beb, v17
	v_fma_f16 v33, v20, s7, v31
	v_fma_f16 v31, v18, s3, -v28
	v_add_f16_e32 v31, v31, v36
	v_mul_f16_e32 v36, 0x3beb, v25
	v_fma_f16 v28, v18, s3, v28
	v_add_f16_e32 v33, v33, v37
	v_fma_f16 v37, v20, s3, v36
	v_add_f16_e32 v28, v28, v29
	v_fma_f16 v29, v20, s3, -v36
	v_mul_f16_e32 v36, 0xb853, v17
	v_add_f16_e32 v37, v37, v40
	v_add_f16_e32 v29, v29, v38
	v_fma_f16 v38, v18, s6, -v36
	v_mul_f16_e32 v40, 0xb853, v25
	v_fma_f16 v36, v18, s6, v36
	v_add_f16_e32 v38, v38, v41
	v_fma_f16 v41, v20, s6, v40
	v_add_f16_e32 v36, v36, v39
	v_fma_f16 v39, v20, s6, -v40
	v_mul_f16_e32 v40, 0xb482, v17
	v_add_f16_e32 v39, v39, v42
	v_fma_f16 v42, v18, s8, -v40
	v_fma_f16 v40, v18, s8, v40
	v_mul_f16_e32 v17, 0x3b47, v17
	v_mul_f16_e32 v43, 0xb482, v25
	v_add_f16_e32 v40, v40, v46
	v_fma_f16 v46, v18, s2, -v17
	v_mul_f16_e32 v25, 0x3b47, v25
	v_fma_f16 v17, v18, s2, v17
	v_add_f16_e32 v15, v17, v15
	v_fma_f16 v17, v20, s2, -v25
	v_add_f16_e32 v18, v32, v19
	v_sub_f16_e32 v19, v32, v19
	v_add_f16_e32 v42, v42, v48
	v_fma_f16 v48, v20, s2, v25
	v_add_f16_e32 v16, v17, v16
	v_add_f16_e32 v17, v45, v44
	v_mul_f16_e32 v25, 0xb482, v19
	v_add_f16_e32 v41, v41, v47
	v_fma_f16 v47, v20, s8, v43
	v_fma_f16 v43, v20, s8, -v43
	v_sub_f16_e32 v20, v45, v44
	v_fma_f16 v32, v17, s8, -v25
	v_add_f16_e32 v30, v32, v30
	v_mul_f16_e32 v32, 0xb482, v20
	v_fma_f16 v25, v17, s8, v25
	v_add_f16_e32 v25, v25, v26
	v_fma_f16 v26, v18, s8, -v32
	v_add_f16_e32 v26, v26, v27
	v_mul_f16_e32 v27, 0x3853, v19
	v_fma_f16 v44, v18, s8, v32
	v_fma_f16 v32, v17, s6, -v27
	v_add_f16_e32 v31, v32, v31
	v_mul_f16_e32 v32, 0x3853, v20
	v_fma_f16 v27, v17, s6, v27
	v_add_f16_e32 v27, v27, v28
	v_fma_f16 v28, v18, s6, -v32
	v_add_f16_e32 v28, v28, v29
	v_mul_f16_e32 v29, 0xba0c, v19
	v_add_f16_e32 v33, v44, v33
	v_fma_f16 v44, v18, s6, v32
	v_fma_f16 v32, v17, s7, -v29
	v_add_f16_e32 v32, v32, v38
	v_mul_f16_e32 v38, 0xba0c, v20
	v_fma_f16 v29, v17, s7, v29
	v_add_f16_e32 v37, v44, v37
	v_fma_f16 v44, v18, s7, v38
	v_add_f16_e32 v29, v29, v36
	v_fma_f16 v36, v18, s7, -v38
	v_mul_f16_e32 v38, 0x3b47, v19
	v_add_f16_e32 v36, v36, v39
	v_fma_f16 v39, v17, s2, -v38
	v_add_f16_e32 v39, v39, v42
	v_mul_f16_e32 v42, 0x3b47, v20
	v_fma_f16 v38, v17, s2, v38
	v_mul_f16_e32 v19, 0xbbeb, v19
	v_add_f16_e32 v49, v49, v53
	v_add_f16_e32 v41, v44, v41
	v_fma_f16 v44, v18, s2, v42
	v_add_f16_e32 v38, v38, v40
	v_fma_f16 v40, v18, s2, -v42
	v_fma_f16 v42, v17, s3, -v19
	v_mul_f16_e32 v20, 0xbbeb, v20
	v_fma_f16 v17, v17, s3, v19
	v_add_f16_e32 v55, v55, v57
	v_add_f16_e32 v54, v54, v58
	;; [unrolled: 1-line block ×5, first 2 shown]
	v_fma_f16 v17, v18, s3, -v20
	v_add_f16_e32 v51, v51, v55
	v_add_f16_e32 v50, v50, v54
	;; [unrolled: 1-line block ×8, first 2 shown]
	v_fma_f16 v43, v18, s3, v20
	v_pack_b32_f16 v17, v34, v35
	v_pack_b32_f16 v18, v30, v33
	;; [unrolled: 1-line block ×4, first 2 shown]
	v_add_f16_e32 v44, v44, v47
	v_add_f16_e32 v42, v42, v46
	;; [unrolled: 1-line block ×3, first 2 shown]
	ds_write2_b32 v22, v17, v18 offset1:176
	v_pack_b32_f16 v17, v31, v37
	v_pack_b32_f16 v18, v32, v41
	v_add_u32_e32 v19, 0x500, v22
	ds_write2_b32 v2, v15, v16 offset0:32 offset1:208
	v_pack_b32_f16 v2, v29, v36
	v_pack_b32_f16 v15, v27, v28
	ds_write2_b32 v19, v17, v18 offset0:32 offset1:208
	v_pack_b32_f16 v17, v39, v44
	v_pack_b32_f16 v18, v42, v43
	v_add_u32_e32 v19, 0xa00, v22
	ds_write2_b32 v10, v2, v15 offset1:176
	v_pack_b32_f16 v2, v25, v26
	ds_write2_b32 v19, v17, v18 offset0:64 offset1:240
	ds_write_b32 v22, v2 offset:7040
	s_waitcnt lgkmcnt(0)
	s_barrier
	ds_read_b32 v10, v22
	s_add_u32 s8, s12, 0x1e38
	s_addc_u32 s9, s13, 0
	v_sub_u32_e32 v2, 0, v8
	v_cmp_ne_u32_e64 s[2:3], 0, v7
                                        ; implicit-def: $vgpr16
                                        ; implicit-def: $vgpr8
                                        ; implicit-def: $vgpr17
	s_and_saveexec_b64 s[6:7], s[2:3]
	s_xor_b64 s[6:7], exec, s[6:7]
	s_cbranch_execz .LBB0_25
; %bb.24:
	v_mov_b32_e32 v8, 0
	v_lshlrev_b64 v[15:16], 2, v[7:8]
	v_mov_b32_e32 v8, s9
	v_add_co_u32_e64 v15, s[2:3], s8, v15
	v_addc_co_u32_e64 v16, s[2:3], v8, v16, s[2:3]
	global_load_dword v15, v[15:16], off
	ds_read_b32 v8, v2 offset:7744
	s_waitcnt lgkmcnt(0)
	v_add_f16_sdwa v17, v8, v10 dst_sel:DWORD dst_unused:UNUSED_PAD src0_sel:WORD_1 src1_sel:WORD_1
	v_sub_f16_e32 v18, v10, v8
	v_add_f16_e32 v16, v8, v10
	v_sub_f16_sdwa v8, v10, v8 dst_sel:DWORD dst_unused:UNUSED_PAD src0_sel:WORD_1 src1_sel:WORD_1
	v_mul_f16_e32 v10, 0.5, v17
	v_mul_f16_e32 v18, 0.5, v18
	;; [unrolled: 1-line block ×3, first 2 shown]
	s_waitcnt vmcnt(0)
	v_lshrrev_b32_e32 v17, 16, v15
	v_mul_f16_e32 v19, v17, v18
	v_fma_f16 v20, v10, v17, v8
	v_fma_f16 v25, v10, v17, -v8
	v_fma_f16 v8, v16, 0.5, v19
	v_fma_f16 v16, v16, 0.5, -v19
	v_fma_f16 v19, v15, v10, v8
	v_fma_f16 v17, -v15, v18, v20
	v_fma_f16 v8, -v15, v10, v16
	ds_write_b16 v22, v19
	v_fma_f16 v16, -v15, v18, v25
                                        ; implicit-def: $vgpr10
.LBB0_25:
	s_andn2_saveexec_b64 s[2:3], s[6:7]
	s_cbranch_execz .LBB0_27
; %bb.26:
	v_mov_b32_e32 v17, 0
	ds_read_u16 v15, v17 offset:3874
	s_waitcnt lgkmcnt(1)
	v_add_f16_sdwa v16, v10, v10 dst_sel:DWORD dst_unused:UNUSED_PAD src0_sel:WORD_1 src1_sel:DWORD
	v_sub_f16_sdwa v8, v10, v10 dst_sel:DWORD dst_unused:UNUSED_PAD src0_sel:DWORD src1_sel:WORD_1
	ds_write_b16 v22, v16
	v_mov_b32_e32 v16, 0
	s_waitcnt lgkmcnt(1)
	v_xor_b32_e32 v10, 0x8000, v15
	ds_write_b16 v17, v10 offset:3874
.LBB0_27:
	s_or_b64 exec, exec, s[2:3]
	s_waitcnt lgkmcnt(0)
	v_mov_b32_e32 v10, 0
	v_lshlrev_b64 v[18:19], 2, v[9:10]
	v_mov_b32_e32 v9, s9
	v_add_co_u32_e64 v18, s[2:3], s8, v18
	v_addc_co_u32_e64 v19, s[2:3], v9, v19, s[2:3]
	global_load_dword v18, v[18:19], off
	v_mov_b32_e32 v15, v10
	v_lshlrev_b64 v[14:15], 2, v[14:15]
	ds_write_b16 v22, v17 offset:2
	v_add_co_u32_e64 v14, s[2:3], s8, v14
	v_addc_co_u32_e64 v15, s[2:3], v9, v15, s[2:3]
	global_load_dword v15, v[14:15], off
	v_mov_b32_e32 v14, v10
	v_lshlrev_b64 v[13:14], 2, v[13:14]
	v_mov_b32_e32 v17, s9
	v_add_co_u32_e64 v13, s[2:3], s8, v13
	v_addc_co_u32_e64 v14, s[2:3], v9, v14, s[2:3]
	global_load_dword v14, v[13:14], off
	s_mov_b32 s2, 0x5040100
	v_perm_b32 v8, v16, v8, s2
	v_mov_b32_e32 v13, v10
	ds_write_b32 v2, v8 offset:7744
	v_lshlrev_b64 v[8:9], 2, v[12:13]
	ds_read_b32 v12, v24
	ds_read_b32 v13, v2 offset:7040
	v_add_co_u32_e64 v8, s[2:3], s8, v8
	v_addc_co_u32_e64 v9, s[2:3], v17, v9, s[2:3]
	global_load_dword v8, v[8:9], off
	s_mov_b32 s6, 0xffff
	s_waitcnt lgkmcnt(0)
	v_pk_add_f16 v9, v12, v13 neg_lo:[0,1] neg_hi:[0,1]
	v_pk_add_f16 v12, v12, v13
	v_bfi_b32 v13, s6, v9, v12
	v_bfi_b32 v9, s6, v12, v9
	v_pk_mul_f16 v12, v13, 0.5 op_sel_hi:[1,0]
	v_pk_mul_f16 v9, v9, 0.5 op_sel_hi:[1,0]
	s_waitcnt vmcnt(3)
	v_pk_fma_f16 v13, v18, v12, v9 op_sel:[1,0,0]
	v_pk_mul_f16 v16, v18, v12 op_sel_hi:[0,1]
	v_pk_fma_f16 v17, v18, v12, v9 op_sel:[1,0,0] neg_lo:[1,0,0] neg_hi:[1,0,0]
	v_pk_fma_f16 v9, v18, v12, v9 op_sel:[1,0,0] neg_lo:[0,0,1] neg_hi:[0,0,1]
	v_pk_add_f16 v12, v13, v16 op_sel:[0,1] op_sel_hi:[1,0]
	v_pk_add_f16 v13, v13, v16 op_sel:[0,1] op_sel_hi:[1,0] neg_lo:[0,1] neg_hi:[0,1]
	v_pk_add_f16 v17, v17, v16 op_sel:[0,1] op_sel_hi:[1,0] neg_lo:[0,1] neg_hi:[0,1]
	v_pk_add_f16 v9, v9, v16 op_sel:[0,1] op_sel_hi:[1,0] neg_lo:[0,1] neg_hi:[0,1]
	v_bfi_b32 v12, s6, v12, v13
	v_bfi_b32 v9, s6, v17, v9
	ds_write_b32 v24, v12
	ds_write_b32 v2, v9 offset:7040
	ds_read_b32 v9, v23
	ds_read_b32 v12, v2 offset:6336
	s_waitcnt lgkmcnt(0)
	v_pk_add_f16 v13, v9, v12 neg_lo:[0,1] neg_hi:[0,1]
	v_pk_add_f16 v9, v9, v12
	v_bfi_b32 v12, s6, v13, v9
	v_bfi_b32 v9, s6, v9, v13
	v_pk_mul_f16 v12, v12, 0.5 op_sel_hi:[1,0]
	v_pk_mul_f16 v9, v9, 0.5 op_sel_hi:[1,0]
	s_waitcnt vmcnt(2)
	v_pk_fma_f16 v13, v15, v12, v9 op_sel:[1,0,0]
	v_pk_mul_f16 v16, v15, v12 op_sel_hi:[0,1]
	v_pk_fma_f16 v17, v15, v12, v9 op_sel:[1,0,0] neg_lo:[1,0,0] neg_hi:[1,0,0]
	v_pk_fma_f16 v9, v15, v12, v9 op_sel:[1,0,0] neg_lo:[0,0,1] neg_hi:[0,0,1]
	v_pk_add_f16 v12, v13, v16 op_sel:[0,1] op_sel_hi:[1,0]
	v_pk_add_f16 v13, v13, v16 op_sel:[0,1] op_sel_hi:[1,0] neg_lo:[0,1] neg_hi:[0,1]
	v_pk_add_f16 v15, v17, v16 op_sel:[0,1] op_sel_hi:[1,0] neg_lo:[0,1] neg_hi:[0,1]
	v_pk_add_f16 v9, v9, v16 op_sel:[0,1] op_sel_hi:[1,0] neg_lo:[0,1] neg_hi:[0,1]
	v_bfi_b32 v12, s6, v12, v13
	v_bfi_b32 v9, s6, v15, v9
	ds_write_b32 v23, v12
	ds_write_b32 v2, v9 offset:6336
	ds_read_b32 v9, v1
	ds_read_b32 v12, v2 offset:5632
	;; [unrolled: 22-line block ×3, first 2 shown]
	s_waitcnt lgkmcnt(0)
	v_pk_add_f16 v12, v1, v9 neg_lo:[0,1] neg_hi:[0,1]
	v_pk_add_f16 v1, v1, v9
	v_bfi_b32 v9, s6, v12, v1
	v_bfi_b32 v1, s6, v1, v12
	v_pk_mul_f16 v9, v9, 0.5 op_sel_hi:[1,0]
	v_pk_mul_f16 v1, v1, 0.5 op_sel_hi:[1,0]
	s_waitcnt vmcnt(0)
	v_pk_fma_f16 v12, v8, v9, v1 op_sel:[1,0,0]
	v_pk_mul_f16 v13, v8, v9 op_sel_hi:[0,1]
	v_pk_fma_f16 v14, v8, v9, v1 op_sel:[1,0,0] neg_lo:[1,0,0] neg_hi:[1,0,0]
	v_pk_fma_f16 v1, v8, v9, v1 op_sel:[1,0,0] neg_lo:[0,0,1] neg_hi:[0,0,1]
	v_pk_add_f16 v8, v12, v13 op_sel:[0,1] op_sel_hi:[1,0]
	v_pk_add_f16 v9, v12, v13 op_sel:[0,1] op_sel_hi:[1,0] neg_lo:[0,1] neg_hi:[0,1]
	v_pk_add_f16 v12, v14, v13 op_sel:[0,1] op_sel_hi:[1,0] neg_lo:[0,1] neg_hi:[0,1]
	;; [unrolled: 1-line block ×3, first 2 shown]
	v_bfi_b32 v8, s6, v8, v9
	v_bfi_b32 v1, s6, v12, v1
	ds_write_b32 v0, v8
	ds_write_b32 v2, v1 offset:4928
	s_and_saveexec_b64 s[2:3], vcc
	s_cbranch_execz .LBB0_29
; %bb.28:
	v_mov_b32_e32 v12, v10
	v_lshlrev_b64 v[0:1], 2, v[11:12]
	v_mov_b32_e32 v8, s9
	v_add_co_u32_e32 v0, vcc, s8, v0
	v_addc_co_u32_e32 v1, vcc, v8, v1, vcc
	global_load_dword v0, v[0:1], off
	ds_read_b32 v1, v21
	ds_read_b32 v8, v2 offset:4224
	s_waitcnt lgkmcnt(0)
	v_pk_add_f16 v9, v1, v8 neg_lo:[0,1] neg_hi:[0,1]
	v_pk_add_f16 v1, v1, v8
	v_bfi_b32 v8, s6, v9, v1
	v_bfi_b32 v1, s6, v1, v9
	v_pk_mul_f16 v8, v8, 0.5 op_sel_hi:[1,0]
	v_pk_mul_f16 v1, v1, 0.5 op_sel_hi:[1,0]
	s_waitcnt vmcnt(0)
	v_pk_fma_f16 v9, v0, v8, v1 op_sel:[1,0,0]
	v_pk_mul_f16 v10, v0, v8 op_sel_hi:[0,1]
	v_pk_fma_f16 v11, v0, v8, v1 op_sel:[1,0,0] neg_lo:[1,0,0] neg_hi:[1,0,0]
	v_pk_fma_f16 v0, v0, v8, v1 op_sel:[1,0,0] neg_lo:[0,0,1] neg_hi:[0,0,1]
	v_pk_add_f16 v1, v9, v10 op_sel:[0,1] op_sel_hi:[1,0]
	v_pk_add_f16 v8, v9, v10 op_sel:[0,1] op_sel_hi:[1,0] neg_lo:[0,1] neg_hi:[0,1]
	v_pk_add_f16 v9, v11, v10 op_sel:[0,1] op_sel_hi:[1,0] neg_lo:[0,1] neg_hi:[0,1]
	;; [unrolled: 1-line block ×3, first 2 shown]
	v_bfi_b32 v1, s6, v1, v8
	v_bfi_b32 v0, s6, v9, v0
	ds_write_b32 v21, v1
	ds_write_b32 v2, v0 offset:4224
.LBB0_29:
	s_or_b64 exec, exec, s[2:3]
	s_waitcnt lgkmcnt(0)
	s_barrier
	s_and_saveexec_b64 s[2:3], s[0:1]
	s_cbranch_execz .LBB0_32
; %bb.30:
	v_mul_lo_u32 v2, s5, v5
	v_mul_lo_u32 v6, s4, v6
	v_mad_u64_u32 v[0:1], s[0:1], s4, v5, 0
	v_lshl_add_u32 v9, v7, 2, 0
	v_mov_b32_e32 v8, 0
	v_add3_u32 v1, v1, v6, v2
	v_lshlrev_b64 v[0:1], 2, v[0:1]
	v_mov_b32_e32 v2, s11
	v_add_co_u32_e32 v0, vcc, s10, v0
	v_addc_co_u32_e32 v10, vcc, v2, v1, vcc
	v_lshlrev_b64 v[1:2], 2, v[3:4]
	ds_read2_b32 v[5:6], v9 offset1:176
	v_add_co_u32_e32 v1, vcc, v0, v1
	v_addc_co_u32_e32 v0, vcc, v10, v2, vcc
	v_lshlrev_b64 v[2:3], 2, v[7:8]
	v_add_u32_e32 v4, 0x500, v9
	v_add_co_u32_e32 v2, vcc, v1, v2
	v_addc_co_u32_e32 v3, vcc, v0, v3, vcc
	s_waitcnt lgkmcnt(0)
	global_store_dword v[2:3], v5, off
	v_add_u32_e32 v2, 0xb0, v7
	v_mov_b32_e32 v3, v8
	v_lshlrev_b64 v[2:3], 2, v[2:3]
	ds_read2_b32 v[4:5], v4 offset0:32 offset1:208
	v_add_co_u32_e32 v2, vcc, v1, v2
	v_addc_co_u32_e32 v3, vcc, v0, v3, vcc
	global_store_dword v[2:3], v6, off
	v_add_u32_e32 v2, 0x160, v7
	v_mov_b32_e32 v3, v8
	v_lshlrev_b64 v[2:3], 2, v[2:3]
	s_movk_i32 s0, 0xaf
	v_add_co_u32_e32 v2, vcc, v1, v2
	v_addc_co_u32_e32 v3, vcc, v0, v3, vcc
	s_waitcnt lgkmcnt(0)
	global_store_dword v[2:3], v4, off
	v_add_u32_e32 v2, 0x210, v7
	v_mov_b32_e32 v3, v8
	v_lshlrev_b64 v[2:3], 2, v[2:3]
	v_add_u32_e32 v4, 0xa00, v9
	v_add_co_u32_e32 v2, vcc, v1, v2
	v_addc_co_u32_e32 v3, vcc, v0, v3, vcc
	global_store_dword v[2:3], v5, off
	v_add_u32_e32 v2, 0x2c0, v7
	v_mov_b32_e32 v3, v8
	ds_read2_b32 v[4:5], v4 offset0:64 offset1:240
	v_lshlrev_b64 v[2:3], 2, v[2:3]
	v_add_co_u32_e32 v2, vcc, v1, v2
	v_addc_co_u32_e32 v3, vcc, v0, v3, vcc
	s_waitcnt lgkmcnt(0)
	global_store_dword v[2:3], v4, off
	v_add_u32_e32 v2, 0x370, v7
	v_mov_b32_e32 v3, v8
	v_lshlrev_b64 v[2:3], 2, v[2:3]
	v_add_u32_e32 v4, 0x1000, v9
	v_add_co_u32_e32 v2, vcc, v1, v2
	v_addc_co_u32_e32 v3, vcc, v0, v3, vcc
	global_store_dword v[2:3], v5, off
	v_add_u32_e32 v2, 0x420, v7
	v_mov_b32_e32 v3, v8
	ds_read2_b32 v[4:5], v4 offset0:32 offset1:208
	v_lshlrev_b64 v[2:3], 2, v[2:3]
	v_add_co_u32_e32 v2, vcc, v1, v2
	v_addc_co_u32_e32 v3, vcc, v0, v3, vcc
	s_waitcnt lgkmcnt(0)
	global_store_dword v[2:3], v4, off
	v_add_u32_e32 v2, 0x4d0, v7
	v_mov_b32_e32 v3, v8
	v_lshlrev_b64 v[2:3], 2, v[2:3]
	v_add_u32_e32 v4, 0x1600, v9
	v_add_co_u32_e32 v2, vcc, v1, v2
	v_addc_co_u32_e32 v3, vcc, v0, v3, vcc
	global_store_dword v[2:3], v5, off
	v_add_u32_e32 v2, 0x580, v7
	v_mov_b32_e32 v3, v8
	ds_read2_b32 v[4:5], v4 offset1:176
	v_lshlrev_b64 v[2:3], 2, v[2:3]
	v_add_co_u32_e32 v2, vcc, v1, v2
	v_addc_co_u32_e32 v3, vcc, v0, v3, vcc
	s_waitcnt lgkmcnt(0)
	global_store_dword v[2:3], v4, off
	v_add_u32_e32 v2, 0x630, v7
	v_mov_b32_e32 v3, v8
	v_lshlrev_b64 v[2:3], 2, v[2:3]
	ds_read_b32 v4, v9 offset:7040
	v_add_co_u32_e32 v2, vcc, v1, v2
	v_addc_co_u32_e32 v3, vcc, v0, v3, vcc
	global_store_dword v[2:3], v5, off
	v_add_u32_e32 v2, 0x6e0, v7
	v_mov_b32_e32 v3, v8
	v_lshlrev_b64 v[2:3], 2, v[2:3]
	v_add_co_u32_e32 v2, vcc, v1, v2
	v_addc_co_u32_e32 v3, vcc, v0, v3, vcc
	v_cmp_eq_u32_e32 vcc, s0, v7
	s_waitcnt lgkmcnt(0)
	global_store_dword v[2:3], v4, off
	s_and_b64 exec, exec, vcc
	s_cbranch_execz .LBB0_32
; %bb.31:
	ds_read_b32 v3, v8 offset:7744
	v_add_co_u32_e32 v1, vcc, 0x1000, v1
	v_addc_co_u32_e32 v2, vcc, 0, v0, vcc
	s_waitcnt lgkmcnt(0)
	global_store_dword v[1:2], v3, off offset:3648
.LBB0_32:
	s_endpgm
	.section	.rodata,"a",@progbits
	.p2align	6, 0x0
	.amdhsa_kernel fft_rtc_fwd_len1936_factors_2_2_4_11_11_wgs_176_tpt_176_half_op_CI_CI_unitstride_sbrr_R2C_dirReg
		.amdhsa_group_segment_fixed_size 0
		.amdhsa_private_segment_fixed_size 0
		.amdhsa_kernarg_size 104
		.amdhsa_user_sgpr_count 6
		.amdhsa_user_sgpr_private_segment_buffer 1
		.amdhsa_user_sgpr_dispatch_ptr 0
		.amdhsa_user_sgpr_queue_ptr 0
		.amdhsa_user_sgpr_kernarg_segment_ptr 1
		.amdhsa_user_sgpr_dispatch_id 0
		.amdhsa_user_sgpr_flat_scratch_init 0
		.amdhsa_user_sgpr_private_segment_size 0
		.amdhsa_uses_dynamic_stack 0
		.amdhsa_system_sgpr_private_segment_wavefront_offset 0
		.amdhsa_system_sgpr_workgroup_id_x 1
		.amdhsa_system_sgpr_workgroup_id_y 0
		.amdhsa_system_sgpr_workgroup_id_z 0
		.amdhsa_system_sgpr_workgroup_info 0
		.amdhsa_system_vgpr_workitem_id 0
		.amdhsa_next_free_vgpr 62
		.amdhsa_next_free_sgpr 28
		.amdhsa_reserve_vcc 1
		.amdhsa_reserve_flat_scratch 0
		.amdhsa_float_round_mode_32 0
		.amdhsa_float_round_mode_16_64 0
		.amdhsa_float_denorm_mode_32 3
		.amdhsa_float_denorm_mode_16_64 3
		.amdhsa_dx10_clamp 1
		.amdhsa_ieee_mode 1
		.amdhsa_fp16_overflow 0
		.amdhsa_exception_fp_ieee_invalid_op 0
		.amdhsa_exception_fp_denorm_src 0
		.amdhsa_exception_fp_ieee_div_zero 0
		.amdhsa_exception_fp_ieee_overflow 0
		.amdhsa_exception_fp_ieee_underflow 0
		.amdhsa_exception_fp_ieee_inexact 0
		.amdhsa_exception_int_div_zero 0
	.end_amdhsa_kernel
	.text
.Lfunc_end0:
	.size	fft_rtc_fwd_len1936_factors_2_2_4_11_11_wgs_176_tpt_176_half_op_CI_CI_unitstride_sbrr_R2C_dirReg, .Lfunc_end0-fft_rtc_fwd_len1936_factors_2_2_4_11_11_wgs_176_tpt_176_half_op_CI_CI_unitstride_sbrr_R2C_dirReg
                                        ; -- End function
	.section	.AMDGPU.csdata,"",@progbits
; Kernel info:
; codeLenInByte = 10684
; NumSgprs: 32
; NumVgprs: 62
; ScratchSize: 0
; MemoryBound: 0
; FloatMode: 240
; IeeeMode: 1
; LDSByteSize: 0 bytes/workgroup (compile time only)
; SGPRBlocks: 3
; VGPRBlocks: 15
; NumSGPRsForWavesPerEU: 32
; NumVGPRsForWavesPerEU: 62
; Occupancy: 4
; WaveLimiterHint : 1
; COMPUTE_PGM_RSRC2:SCRATCH_EN: 0
; COMPUTE_PGM_RSRC2:USER_SGPR: 6
; COMPUTE_PGM_RSRC2:TRAP_HANDLER: 0
; COMPUTE_PGM_RSRC2:TGID_X_EN: 1
; COMPUTE_PGM_RSRC2:TGID_Y_EN: 0
; COMPUTE_PGM_RSRC2:TGID_Z_EN: 0
; COMPUTE_PGM_RSRC2:TIDIG_COMP_CNT: 0
	.type	__hip_cuid_242144eef79d8692,@object ; @__hip_cuid_242144eef79d8692
	.section	.bss,"aw",@nobits
	.globl	__hip_cuid_242144eef79d8692
__hip_cuid_242144eef79d8692:
	.byte	0                               ; 0x0
	.size	__hip_cuid_242144eef79d8692, 1

	.ident	"AMD clang version 19.0.0git (https://github.com/RadeonOpenCompute/llvm-project roc-6.4.0 25133 c7fe45cf4b819c5991fe208aaa96edf142730f1d)"
	.section	".note.GNU-stack","",@progbits
	.addrsig
	.addrsig_sym __hip_cuid_242144eef79d8692
	.amdgpu_metadata
---
amdhsa.kernels:
  - .args:
      - .actual_access:  read_only
        .address_space:  global
        .offset:         0
        .size:           8
        .value_kind:     global_buffer
      - .offset:         8
        .size:           8
        .value_kind:     by_value
      - .actual_access:  read_only
        .address_space:  global
        .offset:         16
        .size:           8
        .value_kind:     global_buffer
      - .actual_access:  read_only
        .address_space:  global
        .offset:         24
        .size:           8
        .value_kind:     global_buffer
      - .actual_access:  read_only
        .address_space:  global
        .offset:         32
        .size:           8
        .value_kind:     global_buffer
      - .offset:         40
        .size:           8
        .value_kind:     by_value
      - .actual_access:  read_only
        .address_space:  global
        .offset:         48
        .size:           8
        .value_kind:     global_buffer
      - .actual_access:  read_only
        .address_space:  global
        .offset:         56
        .size:           8
        .value_kind:     global_buffer
      - .offset:         64
        .size:           4
        .value_kind:     by_value
      - .actual_access:  read_only
        .address_space:  global
        .offset:         72
        .size:           8
        .value_kind:     global_buffer
      - .actual_access:  read_only
        .address_space:  global
        .offset:         80
        .size:           8
        .value_kind:     global_buffer
      - .actual_access:  read_only
        .address_space:  global
        .offset:         88
        .size:           8
        .value_kind:     global_buffer
      - .actual_access:  write_only
        .address_space:  global
        .offset:         96
        .size:           8
        .value_kind:     global_buffer
    .group_segment_fixed_size: 0
    .kernarg_segment_align: 8
    .kernarg_segment_size: 104
    .language:       OpenCL C
    .language_version:
      - 2
      - 0
    .max_flat_workgroup_size: 176
    .name:           fft_rtc_fwd_len1936_factors_2_2_4_11_11_wgs_176_tpt_176_half_op_CI_CI_unitstride_sbrr_R2C_dirReg
    .private_segment_fixed_size: 0
    .sgpr_count:     32
    .sgpr_spill_count: 0
    .symbol:         fft_rtc_fwd_len1936_factors_2_2_4_11_11_wgs_176_tpt_176_half_op_CI_CI_unitstride_sbrr_R2C_dirReg.kd
    .uniform_work_group_size: 1
    .uses_dynamic_stack: false
    .vgpr_count:     62
    .vgpr_spill_count: 0
    .wavefront_size: 64
amdhsa.target:   amdgcn-amd-amdhsa--gfx906
amdhsa.version:
  - 1
  - 2
...

	.end_amdgpu_metadata
